;; amdgpu-corpus repo=zjin-lcf/HeCBench kind=compiled arch=gfx1100 opt=O3
	.text
	.amdgcn_target "amdgcn-amd-amdhsa--gfx1100"
	.amdhsa_code_object_version 6
	.protected	_Z13parallelMatchPcPKjiS_S1_PhP5State ; -- Begin function _Z13parallelMatchPcPKjiS_S1_PhP5State
	.globl	_Z13parallelMatchPcPKjiS_S1_PhP5State
	.p2align	8
	.type	_Z13parallelMatchPcPKjiS_S1_PhP5State,@function
_Z13parallelMatchPcPKjiS_S1_PhP5State:  ; @_Z13parallelMatchPcPKjiS_S1_PhP5State
; %bb.0:
	s_load_b256 s[4:11], s[0:1], 0x18
	s_mov_b32 s12, exec_lo
	v_cmpx_eq_u32_e32 0, v0
	s_cbranch_execz .LBB0_123
; %bb.1:
	s_waitcnt lgkmcnt(0)
	s_load_b32 s2, s[6:7], 0x0
	s_waitcnt lgkmcnt(0)
	v_mov_b32_e32 v1, s2
	s_add_u32 s2, s4, s2
	s_addc_u32 s3, s5, 0
	global_load_u8 v7, v1, s[4:5]
	s_waitcnt vmcnt(0)
	v_cmp_eq_u16_e32 vcc_lo, 0, v7
	s_cbranch_vccnz .LBB0_58
; %bb.2:
	v_mov_b32_e32 v1, 0
	s_mov_b64 s[4:5], 1
.LBB0_3:                                ; =>This Inner Loop Header: Depth=1
	s_delay_alu instid0(SALU_CYCLE_1)
	s_add_u32 s6, s2, s4
	s_addc_u32 s7, s3, s5
	s_add_u32 s4, s4, 1
	global_load_u8 v2, v1, s[6:7]
	s_addc_u32 s5, s5, 0
	s_waitcnt vmcnt(0)
	v_cmp_ne_u16_e32 vcc_lo, 0, v2
	s_cbranch_vccnz .LBB0_3
; %bb.4:
	s_add_i32 s4, s4, -2
	s_delay_alu instid0(SALU_CYCLE_1) | instskip(SKIP_1) | instid1(SALU_CYCLE_1)
	s_cmpk_lt_u32 s4, 0xf9f
	s_cselect_b32 s4, -1, 0
	s_and_b32 vcc_lo, exec_lo, s4
	s_cbranch_vccnz .LBB0_59
.LBB0_5:
	s_mov_b32 s2, 0
	s_mov_b32 s13, 0
	s_mov_b32 vcc_lo, 0
	s_cbranch_vccnz .LBB0_121
.LBB0_6:
	v_mov_b32_e32 v9, 0
	v_bfrev_b32_e32 v11, 4.0
	v_mov_b32_e32 v13, 0x101
	s_mov_b32 s3, 16
	s_mov_b64 s[4:5], src_shared_base
	s_mov_b32 s7, 0
	s_branch .LBB0_8
.LBB0_7:                                ;   in Loop: Header=BB0_8 Depth=1
	s_and_not1_b32 vcc_lo, exec_lo, s4
	s_mov_b32 s13, s14
	s_cbranch_vccz .LBB0_53
.LBB0_8:                                ; =>This Loop Header: Depth=1
                                        ;     Child Loop BB0_14 Depth 2
                                        ;     Child Loop BB0_32 Depth 2
	;; [unrolled: 1-line block ×5, first 2 shown]
	v_mov_b32_e32 v1, s7
	s_mov_b32 s6, s3
	ds_load_u8 v15, v1
	s_waitcnt lgkmcnt(0)
	v_cmp_gt_i16_e32 vcc_lo, 3, v15
	s_cbranch_vccnz .LBB0_17
; %bb.9:                                ;   in Loop: Header=BB0_8 Depth=1
	v_cmp_gt_i16_e32 vcc_lo, 21, v15
	s_mov_b32 s17, -1
	s_mov_b32 s4, 0
	s_mov_b32 s16, 0
                                        ; implicit-def: $sgpr3
                                        ; implicit-def: $sgpr14
	s_cbranch_vccnz .LBB0_22
; %bb.10:                               ;   in Loop: Header=BB0_8 Depth=1
	v_cmp_lt_i16_e32 vcc_lo, 26, v15
	s_cbranch_vccz .LBB0_18
; %bb.11:                               ;   in Loop: Header=BB0_8 Depth=1
	v_cmp_eq_u16_e32 vcc_lo, 27, v15
	s_mov_b32 s16, -1
                                        ; implicit-def: $sgpr3
	s_cbranch_vccz .LBB0_16
; %bb.12:                               ;   in Loop: Header=BB0_8 Depth=1
	s_clause 0x1
	scratch_load_b128 v[1:4], off, s6 offset:-32
	scratch_load_b128 v[5:8], off, s6 offset:-16
	s_mov_b32 s3, exec_lo
	s_waitcnt vmcnt(1)
	v_cmpx_ne_u64_e32 0, v[3:4]
	s_cbranch_execz .LBB0_15
; %bb.13:                               ;   in Loop: Header=BB0_8 Depth=1
	s_mov_b32 s14, 0
.LBB0_14:                               ;   Parent Loop BB0_8 Depth=1
                                        ; =>  This Inner Loop Header: Depth=2
	flat_load_b64 v[16:17], v[3:4]
	s_waitcnt vmcnt(1)
	flat_store_b64 v[3:4], v[5:6]
	s_waitcnt vmcnt(0) lgkmcnt(1)
	v_cmp_eq_u64_e32 vcc_lo, 0, v[16:17]
	v_dual_mov_b32 v3, v16 :: v_dual_mov_b32 v4, v17
	s_or_b32 s14, vcc_lo, s14
	s_delay_alu instid0(SALU_CYCLE_1)
	s_and_not1_b32 exec_lo, exec_lo, s14
	s_cbranch_execnz .LBB0_14
.LBB0_15:                               ;   in Loop: Header=BB0_8 Depth=1
	s_or_b32 exec_lo, exec_lo, s3
	s_waitcnt vmcnt(0)
	v_dual_mov_b32 v3, v7 :: v_dual_mov_b32 v4, v8
	s_add_i32 s3, s6, -16
	s_mov_b32 s16, 0
	scratch_store_b128 off, v[1:4], s6 offset:-32
.LBB0_16:                               ;   in Loop: Header=BB0_8 Depth=1
	s_mov_b32 s14, s13
	s_branch .LBB0_21
.LBB0_17:                               ;   in Loop: Header=BB0_8 Depth=1
	s_mov_b32 s4, 0
                                        ; implicit-def: $sgpr3
                                        ; implicit-def: $sgpr14
	s_branch .LBB0_39
.LBB0_18:                               ;   in Loop: Header=BB0_8 Depth=1
                                        ; implicit-def: $sgpr3
                                        ; implicit-def: $sgpr14
	s_and_b32 vcc_lo, exec_lo, s17
	s_cbranch_vccz .LBB0_21
; %bb.19:                               ;   in Loop: Header=BB0_8 Depth=1
	v_cmp_eq_u16_e32 vcc_lo, 21, v15
	s_mov_b32 s16, -1
                                        ; implicit-def: $sgpr3
                                        ; implicit-def: $sgpr14
	s_cbranch_vccz .LBB0_21
; %bb.20:                               ;   in Loop: Header=BB0_8 Depth=1
	s_mul_i32 s3, s13, 40
	s_mov_b32 s16, s2
	v_add_nc_u32_e64 v1, 0x1800, s3
	s_add_i32 s18, s3, 0x1f40
	s_add_i32 s19, s3, 0x1f48
	s_delay_alu instid0(SALU_CYCLE_1)
	v_dual_mov_b32 v12, s13 :: v_dual_mov_b32 v3, s19
	s_mov_b32 s17, s2
	s_waitcnt vmcnt(0)
	v_dual_mov_b32 v14, s3 :: v_dual_mov_b32 v7, s16
	s_mov_b32 s3, s2
	v_mov_b32_e32 v10, v9
	v_dual_mov_b32 v6, s3 :: v_dual_mov_b32 v5, s2
	v_mov_b32_e32 v2, s5
	v_mov_b32_e32 v4, s5
	ds_store_2addr_b64 v1, v[11:12], v[9:10] offset0:232 offset1:235
	v_dual_mov_b32 v1, s18 :: v_dual_mov_b32 v8, s17
	s_add_i32 s14, s13, 1
	ds_store_b32 v14, v9 offset:8032
	ds_store_b8 v14, v9 offset:8036
	ds_store_2addr_b64 v3, v[5:6], v[7:8] offset1:1
	s_add_i32 s3, s6, 16
	s_mov_b32 s16, 0
	scratch_store_b128 off, v[1:4], s6
.LBB0_21:                               ;   in Loop: Header=BB0_8 Depth=1
	s_mov_b32 s17, 0
.LBB0_22:                               ;   in Loop: Header=BB0_8 Depth=1
	s_delay_alu instid0(SALU_CYCLE_1)
	s_and_b32 vcc_lo, exec_lo, s17
	s_cbranch_vccz .LBB0_25
; %bb.23:                               ;   in Loop: Header=BB0_8 Depth=1
	v_cmp_lt_i16_e32 vcc_lo, 3, v15
	s_cbranch_vccz .LBB0_26
; %bb.24:                               ;   in Loop: Header=BB0_8 Depth=1
	v_cmp_ne_u16_e64 s16, 4, v15
	s_mov_b32 s17, -1
	s_mov_b32 s4, 0
	s_branch .LBB0_27
.LBB0_25:                               ;   in Loop: Header=BB0_8 Depth=1
	s_mov_b32 s17, 0
	s_and_b32 vcc_lo, exec_lo, s16
	s_cbranch_vccnz .LBB0_28
	s_branch .LBB0_29
.LBB0_26:                               ;   in Loop: Header=BB0_8 Depth=1
	s_mov_b32 s17, 0
	s_mov_b32 s4, -1
.LBB0_27:                               ;   in Loop: Header=BB0_8 Depth=1
                                        ; implicit-def: $sgpr3
                                        ; implicit-def: $sgpr14
	s_delay_alu instid0(VALU_DEP_1)
	s_and_b32 vcc_lo, exec_lo, s16
	s_cbranch_vccz .LBB0_29
.LBB0_28:                               ;   in Loop: Header=BB0_8 Depth=1
	s_mul_i32 s3, s13, 40
	v_bfe_i32 v1, v15, 0, 8
	v_add_nc_u32_e64 v3, 0x1800, s3
	s_add_i32 s18, s3, 0x1f40
	s_add_i32 s19, s3, 0x1f48
	v_mov_b32_e32 v2, s13
	s_mov_b32 s16, s2
	s_mov_b32 s17, s2
	s_waitcnt vmcnt(0)
	v_dual_mov_b32 v12, s3 :: v_dual_mov_b32 v7, s16
	s_mov_b32 s3, s2
	v_mov_b32_e32 v10, v9
	v_dual_mov_b32 v6, s3 :: v_dual_mov_b32 v5, s2
	v_mov_b32_e32 v4, s5
	v_mov_b32_e32 v8, s17
	ds_store_2addr_b64 v3, v[1:2], v[9:10] offset0:232 offset1:235
	v_dual_mov_b32 v2, s5 :: v_dual_mov_b32 v1, s18
	v_mov_b32_e32 v3, s19
	s_add_i32 s14, s13, 1
	s_add_i32 s3, s6, 16
	s_mov_b32 s17, 0
	ds_store_b32 v12, v9 offset:8032
	ds_store_b8 v12, v9 offset:8036
	ds_store_2addr_b64 v3, v[5:6], v[7:8] offset1:1
	scratch_store_b128 off, v[1:4], s6
.LBB0_29:                               ;   in Loop: Header=BB0_8 Depth=1
	s_and_not1_b32 vcc_lo, exec_lo, s17
	s_cbranch_vccz .LBB0_31
; %bb.30:                               ;   in Loop: Header=BB0_8 Depth=1
	s_and_b32 vcc_lo, exec_lo, s4
	s_cbranch_vccnz .LBB0_34
	s_branch .LBB0_38
.LBB0_31:                               ;   in Loop: Header=BB0_8 Depth=1
	s_clause 0x1
	scratch_load_b128 v[1:4], off, s6 offset:-32
	scratch_load_b128 v[5:8], off, s6 offset:-16
	s_mul_i32 s16, s13, 40
	v_mov_b32_e32 v10, v9
	v_mov_b32_e32 v12, s16
	s_add_i32 s17, s16, 0x1f48
	s_delay_alu instid0(SALU_CYCLE_1)
	v_dual_mov_b32 v14, s13 :: v_dual_mov_b32 v19, s17
	v_add_nc_u32_e64 v18, 0x1800, s16
	s_add_i32 s3, s6, -16
	s_mov_b32 s14, 0
	s_addk_i32 s16, 0x1f40
	s_waitcnt vmcnt(1)
	v_dual_mov_b32 v16, v1 :: v_dual_mov_b32 v17, v2
	v_dual_mov_b32 v1, v3 :: v_dual_mov_b32 v2, v4
	ds_store_b32 v12, v9 offset:8032
	ds_store_2addr_b64 v18, v[13:14], v[9:10] offset0:232 offset1:235
	s_waitcnt vmcnt(0)
	ds_store_2addr_b64 v19, v[16:17], v[5:6] offset1:1
	ds_store_b8 v12, v9 offset:8036
.LBB0_32:                               ;   Parent Loop BB0_8 Depth=1
                                        ; =>  This Inner Loop Header: Depth=2
	v_dual_mov_b32 v6, v2 :: v_dual_mov_b32 v5, v1
	flat_load_b64 v[1:2], v[1:2]
	s_waitcnt vmcnt(0) lgkmcnt(0)
	v_cmp_eq_u64_e32 vcc_lo, 0, v[1:2]
	s_or_b32 s14, vcc_lo, s14
	s_delay_alu instid0(SALU_CYCLE_1)
	s_and_not1_b32 exec_lo, exec_lo, s14
	s_cbranch_execnz .LBB0_32
; %bb.33:                               ;   in Loop: Header=BB0_8 Depth=1
	s_or_b32 exec_lo, exec_lo, s14
	v_dual_mov_b32 v1, s16 :: v_dual_mov_b32 v2, s5
	s_add_i32 s14, s13, 1
	flat_store_b64 v[5:6], v[7:8]
	scratch_store_b128 off, v[1:4], s6 offset:-32
	s_and_b32 vcc_lo, exec_lo, s4
	s_cbranch_vccz .LBB0_38
.LBB0_34:                               ;   in Loop: Header=BB0_8 Depth=1
	scratch_load_b128 v[1:4], off, s6 offset:-16
	s_mul_i32 s3, s13, 40
	s_delay_alu instid0(SALU_CYCLE_1)
	v_dual_mov_b32 v10, v9 :: v_dual_mov_b32 v5, s3
	s_add_i32 s4, s3, 0x1f48
	v_mov_b32_e32 v14, s13
	s_waitcnt vmcnt(1)
	v_add_nc_u32_e64 v7, 0x1800, s3
	v_mov_b32_e32 v6, s4
	s_add_i32 s4, s3, 0x1f40
	s_mov_b32 s3, exec_lo
	ds_store_b32 v5, v9 offset:8032
	s_waitcnt vmcnt(0)
	ds_store_2addr_b64 v6, v[1:2], v[9:10] offset1:1
	ds_store_2addr_b64 v7, v[13:14], v[9:10] offset0:232 offset1:235
	ds_store_b8 v5, v9 offset:8036
	v_cmpx_ne_u64_e32 0, v[3:4]
	s_cbranch_execz .LBB0_37
; %bb.35:                               ;   in Loop: Header=BB0_8 Depth=1
	v_dual_mov_b32 v1, s4 :: v_dual_mov_b32 v2, s5
	s_mov_b32 s14, 0
.LBB0_36:                               ;   Parent Loop BB0_8 Depth=1
                                        ; =>  This Inner Loop Header: Depth=2
	flat_load_b64 v[5:6], v[3:4]
	flat_store_b64 v[3:4], v[1:2]
	s_waitcnt vmcnt(0) lgkmcnt(1)
	v_cmp_eq_u64_e32 vcc_lo, 0, v[5:6]
	v_dual_mov_b32 v3, v5 :: v_dual_mov_b32 v4, v6
	s_or_b32 s14, vcc_lo, s14
	s_delay_alu instid0(SALU_CYCLE_1)
	s_and_not1_b32 exec_lo, exec_lo, s14
	s_cbranch_execnz .LBB0_36
.LBB0_37:                               ;   in Loop: Header=BB0_8 Depth=1
	s_or_b32 exec_lo, exec_lo, s3
	s_add_i32 s3, s4, 16
	v_dual_mov_b32 v10, v9 :: v_dual_mov_b32 v5, s4
	v_dual_mov_b32 v1, s4 :: v_dual_mov_b32 v2, s5
	;; [unrolled: 1-line block ×3, first 2 shown]
	s_add_i32 s14, s13, 1
	s_mov_b32 s3, s6
	ds_store_b64 v5, v[9:10] offset:16
	scratch_store_b128 off, v[1:4], s6 offset:-16
.LBB0_38:                               ;   in Loop: Header=BB0_8 Depth=1
	s_mov_b32 s4, -1
	s_cbranch_execnz .LBB0_51
.LBB0_39:                               ;   in Loop: Header=BB0_8 Depth=1
	v_cmp_lt_i16_e32 vcc_lo, 0, v15
                                        ; implicit-def: $sgpr14
	s_cbranch_vccz .LBB0_50
; %bb.40:                               ;   in Loop: Header=BB0_8 Depth=1
	v_cmp_lt_i16_e32 vcc_lo, 1, v15
	s_mov_b32 s4, -1
	s_mul_i32 s3, s13, 40
                                        ; implicit-def: $sgpr14
	s_cbranch_vccz .LBB0_44
; %bb.41:                               ;   in Loop: Header=BB0_8 Depth=1
	scratch_load_b128 v[1:4], off, s6 offset:-16
	s_waitcnt vmcnt(1)
	v_dual_mov_b32 v14, s13 :: v_dual_mov_b32 v7, s3
	v_mov_b32_e32 v10, v9
	v_add_nc_u32_e64 v5, 0x1800, s3
	s_add_i32 s14, s3, 0x1f48
	s_add_i32 s4, s3, 0x1f40
	v_mov_b32_e32 v8, s14
	s_mov_b32 s14, 0
	ds_store_2addr_b64 v5, v[13:14], v[9:10] offset0:232 offset1:235
	s_waitcnt vmcnt(0)
	v_dual_mov_b32 v5, v1 :: v_dual_mov_b32 v6, v2
	v_dual_mov_b32 v1, v3 :: v_dual_mov_b32 v2, v4
	ds_store_b32 v7, v9 offset:8032
	ds_store_b8 v7, v9 offset:8036
	ds_store_2addr_b64 v8, v[5:6], v[9:10] offset1:1
.LBB0_42:                               ;   Parent Loop BB0_8 Depth=1
                                        ; =>  This Inner Loop Header: Depth=2
	v_dual_mov_b32 v6, v2 :: v_dual_mov_b32 v5, v1
	flat_load_b64 v[1:2], v[1:2]
	s_waitcnt vmcnt(0) lgkmcnt(0)
	v_cmp_eq_u64_e32 vcc_lo, 0, v[1:2]
	s_or_b32 s14, vcc_lo, s14
	s_delay_alu instid0(SALU_CYCLE_1)
	s_and_not1_b32 exec_lo, exec_lo, s14
	s_cbranch_execnz .LBB0_42
; %bb.43:                               ;   in Loop: Header=BB0_8 Depth=1
	s_or_b32 exec_lo, exec_lo, s14
	s_add_i32 s14, s4, 16
	s_delay_alu instid0(SALU_CYCLE_1)
	v_dual_mov_b32 v2, s5 :: v_dual_mov_b32 v1, s14
	s_add_i32 s14, s13, 1
	flat_store_b64 v[5:6], v[1:2]
	v_mov_b32_e32 v1, s4
	s_mov_b32 s4, 0
	scratch_store_b128 off, v[1:4], s6 offset:-16
.LBB0_44:                               ;   in Loop: Header=BB0_8 Depth=1
	s_and_b32 vcc_lo, exec_lo, s4
	s_cbranch_vccz .LBB0_49
; %bb.45:                               ;   in Loop: Header=BB0_8 Depth=1
	scratch_load_b128 v[1:4], off, s6 offset:-16
	s_add_i32 s4, s3, 0x1f48
	s_waitcnt vmcnt(1)
	v_dual_mov_b32 v7, s3 :: v_dual_mov_b32 v10, v9
	v_mov_b32_e32 v14, s13
	v_add_nc_u32_e64 v12, 0x1800, s3
	v_mov_b32_e32 v8, s4
	s_add_i32 s4, s3, 0x1f40
	s_mov_b32 s3, exec_lo
	s_waitcnt vmcnt(0)
	v_dual_mov_b32 v5, v1 :: v_dual_mov_b32 v6, v2
	ds_store_b32 v7, v9 offset:8032
	ds_store_2addr_b64 v8, v[5:6], v[9:10] offset1:1
	ds_store_2addr_b64 v12, v[13:14], v[9:10] offset0:232 offset1:235
	ds_store_b8 v7, v9 offset:8036
	v_cmpx_ne_u64_e32 0, v[3:4]
	s_cbranch_execz .LBB0_48
; %bb.46:                               ;   in Loop: Header=BB0_8 Depth=1
	s_mov_b32 s14, 0
.LBB0_47:                               ;   Parent Loop BB0_8 Depth=1
                                        ; =>  This Inner Loop Header: Depth=2
	flat_load_b64 v[5:6], v[3:4]
	v_dual_mov_b32 v8, s5 :: v_dual_mov_b32 v7, s4
	flat_store_b64 v[3:4], v[7:8]
	s_waitcnt vmcnt(0) lgkmcnt(1)
	v_cmp_eq_u64_e32 vcc_lo, 0, v[5:6]
	v_dual_mov_b32 v3, v5 :: v_dual_mov_b32 v4, v6
	s_or_b32 s14, vcc_lo, s14
	s_delay_alu instid0(SALU_CYCLE_1)
	s_and_not1_b32 exec_lo, exec_lo, s14
	s_cbranch_execnz .LBB0_47
.LBB0_48:                               ;   in Loop: Header=BB0_8 Depth=1
	s_or_b32 exec_lo, exec_lo, s3
	s_add_i32 s3, s4, 16
	v_dual_mov_b32 v10, v9 :: v_dual_mov_b32 v5, s4
	v_dual_mov_b32 v3, s3 :: v_dual_mov_b32 v4, s5
	s_add_i32 s14, s13, 1
	ds_store_b64 v5, v[9:10] offset:16
	scratch_store_b128 off, v[1:4], s6 offset:-16
.LBB0_49:                               ;   in Loop: Header=BB0_8 Depth=1
	s_mov_b32 s4, -1
.LBB0_50:                               ;   in Loop: Header=BB0_8 Depth=1
	s_mov_b32 s3, s6
.LBB0_51:                               ;   in Loop: Header=BB0_8 Depth=1
	s_and_b32 vcc_lo, exec_lo, s4
	s_mov_b32 s4, -1
	s_cbranch_vccz .LBB0_7
; %bb.52:                               ;   in Loop: Header=BB0_8 Depth=1
	s_add_i32 s7, s7, 1
	s_mov_b32 s4, 0
	s_branch .LBB0_7
.LBB0_53:
	s_add_i32 s2, s6, -16
	v_mov_b32_e32 v1, 0
	v_cmp_ne_u32_e64 s2, s2, 16
	v_mov_b32_e32 v2, 0
	s_delay_alu instid0(VALU_DEP_2)
	s_and_b32 vcc_lo, exec_lo, s2
	s_cbranch_vccnz .LBB0_122
; %bb.54:
	scratch_load_b64 v[3:4], off, s6 offset:-8
	scratch_load_b64 v[1:2], off, off offset:16
	s_mov_b32 s2, exec_lo
	s_waitcnt vmcnt(1)
	v_cmpx_ne_u64_e32 0, v[3:4]
	s_cbranch_execz .LBB0_57
; %bb.55:
	v_dual_mov_b32 v5, s10 :: v_dual_mov_b32 v6, s11
	s_mov_b32 s3, 0
.LBB0_56:                               ; =>This Inner Loop Header: Depth=1
	flat_load_b64 v[7:8], v[3:4]
	flat_store_b64 v[3:4], v[5:6]
	s_waitcnt vmcnt(0) lgkmcnt(1)
	v_cmp_eq_u64_e32 vcc_lo, 0, v[7:8]
	v_dual_mov_b32 v3, v7 :: v_dual_mov_b32 v4, v8
	s_or_b32 s3, vcc_lo, s3
	s_delay_alu instid0(SALU_CYCLE_1)
	s_and_not1_b32 exec_lo, exec_lo, s3
	s_cbranch_execnz .LBB0_56
.LBB0_57:
	s_or_b32 exec_lo, exec_lo, s2
	s_branch .LBB0_122
.LBB0_58:
	s_cbranch_execz .LBB0_5
.LBB0_59:
	v_dual_mov_b32 v8, 0 :: v_dual_mov_b32 v1, 0
	v_dual_mov_b32 v4, 0 :: v_dual_mov_b32 v5, 27
	;; [unrolled: 1-line block ×3, first 2 shown]
	s_mov_b32 s4, 0
	s_mov_b32 s6, 0
                                        ; implicit-def: $sgpr5
	s_branch .LBB0_61
.LBB0_60:                               ;   in Loop: Header=BB0_61 Depth=1
	s_or_b32 exec_lo, exec_lo, s17
	s_delay_alu instid0(SALU_CYCLE_1)
	s_and_b32 s7, exec_lo, s16
	v_dual_mov_b32 v11, s6 :: v_dual_mov_b32 v8, v10
	s_or_b32 s4, s7, s4
	v_mov_b32_e32 v1, v2
	v_mov_b32_e32 v9, v3
	s_and_not1_b32 s5, s5, exec_lo
	s_and_b32 s6, s14, exec_lo
	s_delay_alu instid0(SALU_CYCLE_1)
	s_or_b32 s5, s5, s6
	s_mov_b32 s6, s13
	s_and_not1_b32 exec_lo, exec_lo, s4
	s_cbranch_execz .LBB0_108
.LBB0_61:                               ; =>This Loop Header: Depth=1
                                        ;     Child Loop BB0_95 Depth 2
                                        ;     Child Loop BB0_76 Depth 2
	;; [unrolled: 1-line block ×3, first 2 shown]
	s_waitcnt vmcnt(0)
	v_and_b32_e32 v11, 0xff, v7
	s_delay_alu instid0(VALU_DEP_1)
	v_cmp_gt_i16_e32 vcc_lo, 4, v11
	s_cbranch_vccnz .LBB0_69
; %bb.62:                               ;   in Loop: Header=BB0_61 Depth=1
	v_cmp_lt_i16_e32 vcc_lo, 4, v11
	s_cbranch_vccz .LBB0_70
; %bb.63:                               ;   in Loop: Header=BB0_61 Depth=1
	v_cmp_lt_i16_e32 vcc_lo, 5, v11
	v_add_nc_u32_e64 v14, s6, 16
	s_cbranch_vccz .LBB0_71
; %bb.64:                               ;   in Loop: Header=BB0_61 Depth=1
	v_cmp_ne_u16_e32 vcc_lo, 6, v11
	s_cbranch_vccz .LBB0_72
; %bb.65:                               ;   in Loop: Header=BB0_61 Depth=1
	v_dual_mov_b32 v2, v8 :: v_dual_mov_b32 v3, v9
	s_mov_b32 s7, exec_lo
	v_cmpx_lt_i32_e32 1, v9
	s_cbranch_execz .LBB0_67
; %bb.66:                               ;   in Loop: Header=BB0_61 Depth=1
	v_add_nc_u32_e32 v3, -1, v9
	v_add_nc_u32_e32 v2, 1, v8
	ds_store_b8 v8, v5
.LBB0_67:                               ;   in Loop: Header=BB0_61 Depth=1
	s_or_b32 exec_lo, exec_lo, s7
	v_add_nc_u32_e32 v10, 1, v2
	v_add_nc_u32_e32 v3, 1, v3
	s_mov_b32 s7, -1
	ds_store_b8 v2, v7
.LBB0_68:                               ;   in Loop: Header=BB0_61 Depth=1
	v_mov_b32_e32 v2, v1
	s_mov_b32 s13, s6
                                        ; implicit-def: $sgpr14
                                        ; implicit-def: $vgpr12
                                        ; implicit-def: $vgpr13
                                        ; implicit-def: $vgpr15
	s_branch .LBB0_84
.LBB0_69:                               ;   in Loop: Header=BB0_61 Depth=1
	s_mov_b32 s7, 0
                                        ; implicit-def: $sgpr14
                                        ; implicit-def: $vgpr12
                                        ; implicit-def: $vgpr13
                                        ; implicit-def: $vgpr15
                                        ; implicit-def: $sgpr13
                                        ; implicit-def: $vgpr3
                                        ; implicit-def: $vgpr2
                                        ; implicit-def: $vgpr10
	s_cbranch_execnz .LBB0_100
	s_branch .LBB0_106
.LBB0_70:                               ;   in Loop: Header=BB0_61 Depth=1
	s_mov_b32 s7, 0
                                        ; implicit-def: $sgpr14
                                        ; implicit-def: $vgpr12
                                        ; implicit-def: $vgpr13
                                        ; implicit-def: $vgpr15
                                        ; implicit-def: $sgpr13
                                        ; implicit-def: $vgpr3
                                        ; implicit-def: $vgpr2
                                        ; implicit-def: $vgpr10
	s_cbranch_execnz .LBB0_92
	s_branch .LBB0_99
.LBB0_71:                               ;   in Loop: Header=BB0_61 Depth=1
	s_mov_b32 s7, 0
                                        ; implicit-def: $sgpr14
                                        ; implicit-def: $vgpr12
                                        ; implicit-def: $vgpr13
                                        ; implicit-def: $vgpr15
                                        ; implicit-def: $sgpr13
                                        ; implicit-def: $vgpr3
                                        ; implicit-def: $vgpr2
                                        ; implicit-def: $vgpr10
	s_cbranch_execnz .LBB0_85
	s_branch .LBB0_91
.LBB0_72:                               ;   in Loop: Header=BB0_61 Depth=1
	s_mov_b32 s7, 0
                                        ; implicit-def: $vgpr3
                                        ; implicit-def: $vgpr10
	s_cbranch_execz .LBB0_68
; %bb.73:                               ;   in Loop: Header=BB0_61 Depth=1
	v_cmp_ne_u32_e32 vcc_lo, 0, v9
	s_cmp_lg_u32 s6, 0
                                        ; implicit-def: $vgpr3
                                        ; implicit-def: $vgpr2
                                        ; implicit-def: $vgpr10
	s_cselect_b32 s13, -1, 0
	s_delay_alu instid0(SALU_CYCLE_1) | instskip(NEXT) | instid1(SALU_CYCLE_1)
	s_and_b32 s16, s13, vcc_lo
                                        ; implicit-def: $sgpr13
	s_and_saveexec_b32 s14, s16
	s_cbranch_execz .LBB0_83
; %bb.74:                               ;   in Loop: Header=BB0_61 Depth=1
	v_mov_b32_e32 v10, v8
	s_mov_b32 s13, exec_lo
	v_cmpx_lt_i32_e32 1, v9
	s_cbranch_execz .LBB0_78
; %bb.75:                               ;   in Loop: Header=BB0_61 Depth=1
	v_add_nc_u32_e32 v2, 1, v9
	v_mov_b32_e32 v10, v8
	s_mov_b32 s16, 0
.LBB0_76:                               ;   Parent Loop BB0_61 Depth=1
                                        ; =>  This Inner Loop Header: Depth=2
	s_delay_alu instid0(VALU_DEP_1) | instskip(NEXT) | instid1(VALU_DEP_1)
	v_dual_mov_b32 v3, v10 :: v_dual_add_nc_u32 v2, -1, v2
	v_cmp_gt_u32_e32 vcc_lo, 3, v2
	s_delay_alu instid0(VALU_DEP_2) | instskip(SKIP_2) | instid1(SALU_CYCLE_1)
	v_add_nc_u32_e32 v10, 1, v3
	ds_store_b8 v3, v5
	s_or_b32 s16, vcc_lo, s16
	s_and_not1_b32 exec_lo, exec_lo, s16
	s_cbranch_execnz .LBB0_76
; %bb.77:                               ;   in Loop: Header=BB0_61 Depth=1
	s_or_b32 exec_lo, exec_lo, s16
.LBB0_78:                               ;   in Loop: Header=BB0_61 Depth=1
	s_delay_alu instid0(SALU_CYCLE_1) | instskip(NEXT) | instid1(SALU_CYCLE_1)
	s_or_b32 exec_lo, exec_lo, s13
	s_mov_b32 s13, exec_lo
	v_cmpx_lt_i32_e32 0, v1
	s_cbranch_execz .LBB0_82
; %bb.79:                               ;   in Loop: Header=BB0_61 Depth=1
	v_add_nc_u32_e32 v2, 1, v1
	s_mov_b32 s16, 0
.LBB0_80:                               ;   Parent Loop BB0_61 Depth=1
                                        ; =>  This Inner Loop Header: Depth=2
	s_delay_alu instid0(VALU_DEP_1) | instskip(NEXT) | instid1(VALU_DEP_1)
	v_dual_mov_b32 v3, v10 :: v_dual_add_nc_u32 v2, -1, v2
	v_cmp_gt_u32_e32 vcc_lo, 2, v2
	s_delay_alu instid0(VALU_DEP_2) | instskip(SKIP_2) | instid1(SALU_CYCLE_1)
	v_add_nc_u32_e32 v10, 1, v3
	ds_store_b8 v3, v6
	s_or_b32 s16, vcc_lo, s16
	s_and_not1_b32 exec_lo, exec_lo, s16
	s_cbranch_execnz .LBB0_80
; %bb.81:                               ;   in Loop: Header=BB0_61 Depth=1
	s_or_b32 exec_lo, exec_lo, s16
.LBB0_82:                               ;   in Loop: Header=BB0_61 Depth=1
	s_delay_alu instid0(SALU_CYCLE_1)
	s_or_b32 exec_lo, exec_lo, s13
	scratch_load_b64 v[2:3], v14, off offset:-8
	s_add_i32 s13, s6, -8
	s_or_b32 s7, s7, exec_lo
	s_waitcnt vmcnt(0)
	v_add_nc_u32_e32 v3, 1, v3
.LBB0_83:                               ;   in Loop: Header=BB0_61 Depth=1
	s_or_b32 exec_lo, exec_lo, s14
	v_dual_mov_b32 v12, v8 :: v_dual_mov_b32 v13, v1
	v_mov_b32_e32 v15, v9
	s_mov_b32 s14, -1
.LBB0_84:                               ;   in Loop: Header=BB0_61 Depth=1
	s_branch .LBB0_91
.LBB0_85:                               ;   in Loop: Header=BB0_61 Depth=1
	v_mov_b32_e32 v10, v8
	v_mov_b32_e32 v2, v9
	s_mov_b32 s13, exec_lo
	v_cmpx_lt_i32_e32 1, v9
	s_cbranch_execz .LBB0_87
; %bb.86:                               ;   in Loop: Header=BB0_61 Depth=1
	v_add_nc_u32_e32 v2, -1, v9
	v_add_nc_u32_e32 v10, 1, v8
	ds_store_b8 v8, v5
.LBB0_87:                               ;   in Loop: Header=BB0_61 Depth=1
	s_or_b32 exec_lo, exec_lo, s13
	s_cmpk_gt_i32 s6, 0x31f
	s_cbranch_scc1 .LBB0_89
; %bb.88:                               ;   in Loop: Header=BB0_61 Depth=1
	s_add_i32 s13, s6, 8
	s_mov_b32 s14, 0
	s_or_b32 s7, s7, exec_lo
	scratch_store_b64 v14, v[1:2], off
	s_branch .LBB0_90
.LBB0_89:                               ;   in Loop: Header=BB0_61 Depth=1
                                        ; implicit-def: $sgpr13
                                        ; implicit-def: $sgpr14
                                        ; implicit-def: $vgpr10
.LBB0_90:                               ;   in Loop: Header=BB0_61 Depth=1
	v_dual_mov_b32 v3, s14 :: v_dual_mov_b32 v12, v8
	v_dual_mov_b32 v13, v1 :: v_dual_mov_b32 v2, s14
	v_mov_b32_e32 v15, v9
	s_mov_b32 s14, -1
.LBB0_91:                               ;   in Loop: Header=BB0_61 Depth=1
	s_branch .LBB0_99
.LBB0_92:                               ;   in Loop: Header=BB0_61 Depth=1
	s_mov_b32 s13, exec_lo
                                        ; implicit-def: $vgpr3
                                        ; implicit-def: $vgpr2
                                        ; implicit-def: $vgpr10
	v_cmpx_ne_u32_e32 0, v9
	s_cbranch_execz .LBB0_98
; %bb.93:                               ;   in Loop: Header=BB0_61 Depth=1
	v_dual_mov_b32 v10, v8 :: v_dual_add_nc_u32 v3, -1, v9
	s_mov_b32 s14, exec_lo
	v_cmpx_lt_i32_e32 1, v9
	s_cbranch_execz .LBB0_97
; %bb.94:                               ;   in Loop: Header=BB0_61 Depth=1
	v_mov_b32_e32 v2, v9
	v_mov_b32_e32 v10, v8
	s_mov_b32 s16, 0
.LBB0_95:                               ;   Parent Loop BB0_61 Depth=1
                                        ; =>  This Inner Loop Header: Depth=2
	s_delay_alu instid0(VALU_DEP_1) | instskip(NEXT) | instid1(VALU_DEP_1)
	v_dual_mov_b32 v3, v10 :: v_dual_add_nc_u32 v2, -1, v2
	v_cmp_gt_u32_e32 vcc_lo, 2, v2
	s_delay_alu instid0(VALU_DEP_2) | instskip(SKIP_2) | instid1(SALU_CYCLE_1)
	v_add_nc_u32_e32 v10, 1, v3
	ds_store_b8 v3, v5
	s_or_b32 s16, vcc_lo, s16
	s_and_not1_b32 exec_lo, exec_lo, s16
	s_cbranch_execnz .LBB0_95
; %bb.96:                               ;   in Loop: Header=BB0_61 Depth=1
	s_or_b32 exec_lo, exec_lo, s16
	v_mov_b32_e32 v3, 0
.LBB0_97:                               ;   in Loop: Header=BB0_61 Depth=1
	s_or_b32 exec_lo, exec_lo, s14
	v_add_nc_u32_e32 v2, 1, v1
	s_or_b32 s7, s7, exec_lo
.LBB0_98:                               ;   in Loop: Header=BB0_61 Depth=1
	s_or_b32 exec_lo, exec_lo, s13
	v_dual_mov_b32 v12, v8 :: v_dual_mov_b32 v13, v1
	v_mov_b32_e32 v15, v9
	s_mov_b32 s14, -1
	s_mov_b32 s13, s6
.LBB0_99:                               ;   in Loop: Header=BB0_61 Depth=1
	s_branch .LBB0_106
.LBB0_100:                              ;   in Loop: Header=BB0_61 Depth=1
	v_cmp_lt_i16_e32 vcc_lo, 0, v11
	s_cbranch_vccz .LBB0_104
; %bb.101:                              ;   in Loop: Header=BB0_61 Depth=1
	s_mov_b32 s13, exec_lo
                                        ; implicit-def: $vgpr10
	v_cmpx_ne_u32_e32 0, v9
	s_cbranch_execz .LBB0_103
; %bb.102:                              ;   in Loop: Header=BB0_61 Depth=1
	v_add_nc_u32_e32 v10, 1, v8
	s_or_b32 s7, s7, exec_lo
	ds_store_b8 v8, v7
                                        ; implicit-def: $vgpr8
.LBB0_103:                              ;   in Loop: Header=BB0_61 Depth=1
	s_or_b32 exec_lo, exec_lo, s13
	v_mov_b32_e32 v3, v9
	v_mov_b32_e32 v2, v1
	s_mov_b32 s14, -1
	s_mov_b32 s13, s6
	s_branch .LBB0_105
.LBB0_104:                              ;   in Loop: Header=BB0_61 Depth=1
	s_mov_b32 s14, 0
                                        ; implicit-def: $sgpr13
                                        ; implicit-def: $vgpr3
                                        ; implicit-def: $vgpr2
                                        ; implicit-def: $vgpr10
.LBB0_105:                              ;   in Loop: Header=BB0_61 Depth=1
	v_dual_mov_b32 v12, v8 :: v_dual_mov_b32 v13, v1
	v_mov_b32_e32 v15, v9
.LBB0_106:                              ;   in Loop: Header=BB0_61 Depth=1
	s_mov_b32 s16, -1
                                        ; implicit-def: $vgpr7
	s_and_saveexec_b32 s17, s7
	s_cbranch_execz .LBB0_60
; %bb.107:                              ;   in Loop: Header=BB0_61 Depth=1
	global_load_u8 v7, v4, s[2:3] offset:1
	s_add_u32 s2, s2, 1
	s_addc_u32 s3, s3, 0
	s_xor_b32 s16, exec_lo, -1
                                        ; implicit-def: $vgpr12
                                        ; implicit-def: $vgpr13
                                        ; implicit-def: $vgpr15
	s_branch .LBB0_60
.LBB0_108:
	s_or_b32 exec_lo, exec_lo, s4
	s_xor_b32 s2, s5, -1
	s_delay_alu instid0(SALU_CYCLE_1) | instskip(NEXT) | instid1(SALU_CYCLE_1)
	s_and_saveexec_b32 s3, s2
	s_xor_b32 s2, exec_lo, s3
	s_cbranch_execz .LBB0_120
; %bb.109:
	s_mov_b32 s3, exec_lo
	v_cmpx_eq_u32_e32 0, v11
	s_cbranch_execz .LBB0_119
; %bb.110:
	s_mov_b32 s4, exec_lo
	v_cmpx_lt_i32_e32 1, v15
	s_cbranch_execz .LBB0_114
; %bb.111:
	v_dual_mov_b32 v2, 27 :: v_dual_add_nc_u32 v1, 1, v15
	s_mov_b32 s5, 0
.LBB0_112:                              ; =>This Inner Loop Header: Depth=1
	s_delay_alu instid0(VALU_DEP_1) | instskip(SKIP_1) | instid1(VALU_DEP_2)
	v_add_nc_u32_e32 v1, -1, v1
	v_mov_b32_e32 v3, v12
	v_cmp_gt_u32_e32 vcc_lo, 3, v1
	s_delay_alu instid0(VALU_DEP_2) | instskip(SKIP_2) | instid1(SALU_CYCLE_1)
	v_add_nc_u32_e32 v12, 1, v3
	ds_store_b8 v3, v2
	s_or_b32 s5, vcc_lo, s5
	s_and_not1_b32 exec_lo, exec_lo, s5
	s_cbranch_execnz .LBB0_112
; %bb.113:
	s_or_b32 exec_lo, exec_lo, s5
.LBB0_114:
	s_delay_alu instid0(SALU_CYCLE_1)
	s_or_b32 exec_lo, exec_lo, s4
	s_mov_b32 s5, 0
	s_mov_b32 s4, exec_lo
	v_cmpx_lt_i32_e32 0, v13
	s_cbranch_execz .LBB0_118
; %bb.115:
	v_dual_mov_b32 v2, 4 :: v_dual_add_nc_u32 v1, 1, v13
.LBB0_116:                              ; =>This Inner Loop Header: Depth=1
	s_delay_alu instid0(VALU_DEP_1) | instskip(SKIP_1) | instid1(VALU_DEP_2)
	v_add_nc_u32_e32 v1, -1, v1
	v_mov_b32_e32 v3, v12
	v_cmp_gt_u32_e32 vcc_lo, 2, v1
	s_delay_alu instid0(VALU_DEP_2) | instskip(SKIP_2) | instid1(SALU_CYCLE_1)
	v_add_nc_u32_e32 v12, 1, v3
	ds_store_b8 v3, v2
	s_or_b32 s5, vcc_lo, s5
	s_and_not1_b32 exec_lo, exec_lo, s5
	s_cbranch_execnz .LBB0_116
; %bb.117:
	s_or_b32 exec_lo, exec_lo, s5
.LBB0_118:
	s_delay_alu instid0(SALU_CYCLE_1)
	s_or_b32 exec_lo, exec_lo, s4
	v_mov_b32_e32 v1, 0
	ds_store_b8 v12, v1
.LBB0_119:
	s_or_b32 exec_lo, exec_lo, s3
.LBB0_120:
	s_delay_alu instid0(SALU_CYCLE_1)
	s_or_b32 exec_lo, exec_lo, s2
	s_mov_b32 s2, 0
	s_mov_b32 s13, 0
	s_mov_b32 vcc_lo, 0
	s_cbranch_vccz .LBB0_6
.LBB0_121:
	v_mov_b32_e32 v1, 0
	v_mov_b32_e32 v2, 0
.LBB0_122:
	v_mov_b32_e32 v3, 0
	s_waitcnt vmcnt(0)
	ds_store_b64 v3, v[1:2] offset:12000
.LBB0_123:
	s_or_b32 exec_lo, exec_lo, s12
	s_waitcnt lgkmcnt(0)
	s_waitcnt_vscnt null, 0x0
	s_barrier
	buffer_gl0_inv
	s_clause 0x1
	s_load_b32 s4, s[0:1], 0x44
	s_load_b32 s10, s[0:1], 0x10
	s_add_u32 s2, s0, 56
	s_addc_u32 s3, s1, 0
	s_waitcnt lgkmcnt(0)
	s_and_b32 s11, s4, 0xffff
	s_mov_b32 s4, exec_lo
	v_mad_u64_u32 v[1:2], null, s15, s11, v[0:1]
	s_delay_alu instid0(VALU_DEP_1)
	v_cmpx_gt_i32_e64 s10, v1
	s_cbranch_execz .LBB0_157
; %bb.124:
	v_mov_b32_e32 v0, 0
	s_load_b32 s2, s[2:3], 0x0
	s_load_b128 s[4:7], s[0:1], 0x0
	ds_load_b64 v[3:4], v0 offset:12000
	s_waitcnt lgkmcnt(0)
	s_mul_i32 s1, s2, s11
	s_mov_b32 s2, 0
	s_branch .LBB0_127
.LBB0_125:                              ;   in Loop: Header=BB0_127 Depth=1
	s_or_b32 exec_lo, exec_lo, s3
.LBB0_126:                              ;   in Loop: Header=BB0_127 Depth=1
	s_delay_alu instid0(SALU_CYCLE_1) | instskip(SKIP_3) | instid1(VALU_DEP_2)
	s_or_b32 exec_lo, exec_lo, s0
	v_add_co_u32 v6, vcc_lo, s8, v1
	v_add_nc_u32_e32 v1, s1, v1
	v_add_co_ci_u32_e32 v7, vcc_lo, s9, v2, vcc_lo
	v_cmp_le_i32_e32 vcc_lo, s10, v1
	global_store_b8 v[6:7], v5, off
	s_or_b32 s2, vcc_lo, s2
	s_delay_alu instid0(SALU_CYCLE_1)
	s_and_not1_b32 exec_lo, exec_lo, s2
	s_cbranch_execz .LBB0_157
.LBB0_127:                              ; =>This Loop Header: Depth=1
                                        ;     Child Loop BB0_130 Depth 2
                                        ;     Child Loop BB0_138 Depth 2
                                        ;       Child Loop BB0_142 Depth 3
                                        ;         Child Loop BB0_146 Depth 4
                                        ;     Child Loop BB0_155 Depth 2
	v_ashrrev_i32_e32 v2, 31, v1
	v_dual_mov_b32 v11, 1 :: v_dual_mov_b32 v10, 0
	v_mov_b32_e32 v7, 0
	s_mov_b32 s0, 0
	s_delay_alu instid0(VALU_DEP_3)
	v_lshlrev_b64 v[5:6], 2, v[1:2]
	scratch_store_b64 off, v[3:4], off offset:16
	v_add_co_u32 v5, vcc_lo, s6, v5
	v_add_co_ci_u32_e32 v6, vcc_lo, s7, v6, vcc_lo
	global_load_b32 v8, v[5:6], off
	s_set_inst_prefetch_distance 0x1
	s_branch .LBB0_130
	.p2align	6
.LBB0_128:                              ;   in Loop: Header=BB0_130 Depth=2
	s_or_b32 exec_lo, exec_lo, s11
	s_delay_alu instid0(VALU_DEP_1)
	v_mov_b32_e32 v10, v13
.LBB0_129:                              ;   in Loop: Header=BB0_130 Depth=2
	s_or_b32 exec_lo, exec_lo, s3
	v_cmp_eq_u32_e32 vcc_lo, 0, v9
	v_mov_b32_e32 v11, v9
	s_or_b32 s0, vcc_lo, s0
	s_delay_alu instid0(SALU_CYCLE_1)
	s_and_not1_b32 exec_lo, exec_lo, s0
	s_cbranch_execz .LBB0_135
.LBB0_130:                              ;   Parent Loop BB0_127 Depth=1
                                        ; =>  This Inner Loop Header: Depth=2
	s_delay_alu instid0(VALU_DEP_1)
	v_lshl_add_u32 v12, v11, 3, 16
	v_add_nc_u32_e32 v9, -1, v11
	s_mov_b32 s3, exec_lo
	scratch_load_b64 v[5:6], v12, off offset:-8
	s_waitcnt vmcnt(0)
	v_cmpx_ne_u64_e32 0, v[5:6]
	s_cbranch_execz .LBB0_129
; %bb.131:                              ;   in Loop: Header=BB0_130 Depth=2
	flat_load_b32 v13, v[5:6]
	s_mov_b32 s11, exec_lo
	s_waitcnt vmcnt(0) lgkmcnt(0)
	v_cmpx_ne_u32_e32 0x101, v13
	s_xor_b32 s11, exec_lo, s11
	s_cbranch_execz .LBB0_133
; %bb.132:                              ;   in Loop: Header=BB0_130 Depth=2
	v_add_nc_u32_e32 v10, 1, v7
	v_lshl_add_u32 v11, v7, 3, 0x3e90
                                        ; implicit-def: $vgpr12
	s_delay_alu instid0(VALU_DEP_2)
	v_mov_b32_e32 v7, v10
	scratch_store_b64 v11, v[5:6], off
                                        ; implicit-def: $vgpr5_vgpr6
                                        ; implicit-def: $vgpr11
                                        ; implicit-def: $vgpr10
.LBB0_133:                              ;   in Loop: Header=BB0_130 Depth=2
	s_or_saveexec_b32 s11, s11
	v_mov_b32_e32 v13, v7
	s_xor_b32 exec_lo, exec_lo, s11
	s_cbranch_execz .LBB0_128
; %bb.134:                              ;   in Loop: Header=BB0_130 Depth=2
	flat_load_b128 v[14:17], v[5:6] offset:8
	v_add_nc_u32_e32 v9, 1, v11
	v_mov_b32_e32 v13, v10
	s_waitcnt vmcnt(0) lgkmcnt(0)
	scratch_store_b128 v12, v[14:17], off offset:-8
	s_branch .LBB0_128
.LBB0_135:                              ;   in Loop: Header=BB0_127 Depth=1
	s_set_inst_prefetch_distance 0x2
	s_or_b32 exec_lo, exec_lo, s0
	global_load_u8 v11, v8, s[4:5]
	v_mov_b32_e32 v9, 0x3e90
	s_movk_i32 s0, 0x3e90
	s_mov_b32 s3, exec_lo
	scratch_store_b32 off, v10, s0 offset:800
	s_waitcnt vmcnt(0)
	v_cmpx_ne_u16_e32 0, v11
	s_cbranch_execz .LBB0_152
; %bb.136:                              ;   in Loop: Header=BB0_127 Depth=1
	v_add_co_u32 v5, s0, s4, v8
	s_delay_alu instid0(VALU_DEP_1)
	v_add_co_ci_u32_e64 v6, null, s5, 0, s0
	v_mov_b32_e32 v10, 0x3e90
	v_mov_b32_e32 v7, 0x41b8
	s_mov_b32 s11, 0
	s_branch .LBB0_138
.LBB0_137:                              ;   in Loop: Header=BB0_138 Depth=2
	s_or_b32 exec_lo, exec_lo, s12
	global_load_u8 v11, v[5:6], off offset:1
	v_add_co_u32 v5, vcc_lo, v5, 1
	v_add_co_ci_u32_e32 v6, vcc_lo, 0, v6, vcc_lo
	v_dual_mov_b32 v7, v10 :: v_dual_mov_b32 v10, v9
	s_waitcnt vmcnt(0)
	v_cmp_eq_u16_e32 vcc_lo, 0, v11
	s_or_b32 s11, vcc_lo, s11
	s_delay_alu instid0(SALU_CYCLE_1)
	s_and_not1_b32 exec_lo, exec_lo, s11
	s_cbranch_execz .LBB0_151
.LBB0_138:                              ;   Parent Loop BB0_127 Depth=1
                                        ; =>  This Loop Header: Depth=2
                                        ;       Child Loop BB0_142 Depth 3
                                        ;         Child Loop BB0_146 Depth 4
	scratch_load_b32 v13, v10, off offset:800
	v_mov_b32_e32 v9, v7
	s_mov_b32 s12, exec_lo
	scratch_store_b32 v7, v0, off offset:800
	s_waitcnt vmcnt(0)
	v_cmpx_lt_i32_e32 0, v13
	s_cbranch_execz .LBB0_137
; %bb.139:                              ;   in Loop: Header=BB0_138 Depth=2
	v_dual_mov_b32 v12, 0 :: v_dual_and_b32 v11, 0xff, v11
	s_mov_b32 s13, 0
	s_mov_b32 s14, 0
	s_branch .LBB0_142
.LBB0_140:                              ;   in Loop: Header=BB0_142 Depth=3
	s_set_inst_prefetch_distance 0x2
	s_or_b32 exec_lo, exec_lo, s15
	scratch_load_b32 v13, v10, off offset:800
.LBB0_141:                              ;   in Loop: Header=BB0_142 Depth=3
	s_or_b32 exec_lo, exec_lo, s0
	s_add_i32 s14, s14, 1
	s_waitcnt vmcnt(0)
	v_cmp_ge_i32_e32 vcc_lo, s14, v13
	s_or_b32 s13, vcc_lo, s13
	s_delay_alu instid0(SALU_CYCLE_1)
	s_and_not1_b32 exec_lo, exec_lo, s13
	s_cbranch_execz .LBB0_137
.LBB0_142:                              ;   Parent Loop BB0_127 Depth=1
                                        ;     Parent Loop BB0_138 Depth=2
                                        ; =>    This Loop Header: Depth=3
                                        ;         Child Loop BB0_146 Depth 4
	s_lshl_b32 s0, s14, 3
	s_delay_alu instid0(SALU_CYCLE_1)
	v_add_nc_u32_e32 v7, s0, v10
	scratch_load_b64 v[7:8], v7, off
	s_waitcnt vmcnt(0)
	flat_load_b32 v14, v[7:8]
	s_waitcnt vmcnt(0) lgkmcnt(0)
	v_cmp_eq_u32_e32 vcc_lo, v14, v11
	v_cmp_eq_u32_e64 s0, 0x102, v14
	s_delay_alu instid0(VALU_DEP_1) | instskip(NEXT) | instid1(SALU_CYCLE_1)
	s_or_b32 s15, vcc_lo, s0
	s_and_saveexec_b32 s0, s15
	s_cbranch_execz .LBB0_141
; %bb.143:                              ;   in Loop: Header=BB0_142 Depth=3
	flat_load_b64 v[7:8], v[7:8] offset:8
	v_mov_b32_e32 v14, 1
	s_mov_b32 s15, 0
	s_waitcnt vmcnt(0) lgkmcnt(0)
	scratch_store_b64 off, v[7:8], off offset:16
	s_set_inst_prefetch_distance 0x1
	s_branch .LBB0_146
	.p2align	6
.LBB0_144:                              ;   in Loop: Header=BB0_146 Depth=4
	s_or_b32 exec_lo, exec_lo, s17
.LBB0_145:                              ;   in Loop: Header=BB0_146 Depth=4
	s_delay_alu instid0(SALU_CYCLE_1) | instskip(SKIP_3) | instid1(SALU_CYCLE_1)
	s_or_b32 exec_lo, exec_lo, s16
	v_cmp_eq_u32_e32 vcc_lo, 0, v13
	v_mov_b32_e32 v14, v13
	s_or_b32 s15, vcc_lo, s15
	s_and_not1_b32 exec_lo, exec_lo, s15
	s_cbranch_execz .LBB0_140
.LBB0_146:                              ;   Parent Loop BB0_127 Depth=1
                                        ;     Parent Loop BB0_138 Depth=2
                                        ;       Parent Loop BB0_142 Depth=3
                                        ; =>      This Inner Loop Header: Depth=4
	s_delay_alu instid0(VALU_DEP_1)
	v_lshl_add_u32 v15, v14, 3, 16
	v_add_nc_u32_e32 v13, -1, v14
	s_mov_b32 s16, exec_lo
	scratch_load_b64 v[7:8], v15, off offset:-8
	s_waitcnt vmcnt(0)
	v_cmpx_ne_u64_e32 0, v[7:8]
	s_cbranch_execz .LBB0_145
; %bb.147:                              ;   in Loop: Header=BB0_146 Depth=4
	flat_load_b32 v16, v[7:8]
	s_mov_b32 s17, exec_lo
	s_waitcnt vmcnt(0) lgkmcnt(0)
	v_cmpx_ne_u32_e32 0x101, v16
	s_xor_b32 s17, exec_lo, s17
; %bb.148:                              ;   in Loop: Header=BB0_146 Depth=4
	v_add_nc_u32_e32 v14, 1, v12
	v_lshl_add_u32 v15, v12, 3, v9
	s_clause 0x1
	scratch_store_b32 v9, v14, off offset:800
	scratch_store_b64 v15, v[7:8], off
	v_mov_b32_e32 v12, v14
                                        ; implicit-def: $vgpr7_vgpr8
                                        ; implicit-def: $vgpr14
                                        ; implicit-def: $vgpr15
; %bb.149:                              ;   in Loop: Header=BB0_146 Depth=4
	s_and_not1_saveexec_b32 s17, s17
	s_cbranch_execz .LBB0_144
; %bb.150:                              ;   in Loop: Header=BB0_146 Depth=4
	flat_load_b128 v[16:19], v[7:8] offset:8
	v_add_nc_u32_e32 v13, 1, v14
	s_waitcnt vmcnt(0) lgkmcnt(0)
	scratch_store_b128 v15, v[16:19], off offset:-8
	s_branch .LBB0_144
.LBB0_151:                              ;   in Loop: Header=BB0_127 Depth=1
	s_or_b32 exec_lo, exec_lo, s11
	scratch_load_b32 v7, v9, off offset:800
.LBB0_152:                              ;   in Loop: Header=BB0_127 Depth=1
	s_or_b32 exec_lo, exec_lo, s3
	v_mov_b32_e32 v5, 0
	s_mov_b32 s0, exec_lo
	s_waitcnt vmcnt(0)
	v_cmpx_lt_i32_e32 0, v7
	s_cbranch_execz .LBB0_126
; %bb.153:                              ;   in Loop: Header=BB0_127 Depth=1
	s_mov_b32 s3, 0
                                        ; implicit-def: $sgpr11
	s_branch .LBB0_155
	.p2align	6
.LBB0_154:                              ;   in Loop: Header=BB0_155 Depth=2
	s_or_b32 exec_lo, exec_lo, s12
	s_delay_alu instid0(SALU_CYCLE_1) | instskip(NEXT) | instid1(SALU_CYCLE_1)
	s_and_b32 s12, exec_lo, s11
	s_or_b32 s3, s12, s3
	s_delay_alu instid0(SALU_CYCLE_1)
	s_and_not1_b32 exec_lo, exec_lo, s3
	s_cbranch_execz .LBB0_125
.LBB0_155:                              ;   Parent Loop BB0_127 Depth=1
                                        ; =>  This Inner Loop Header: Depth=2
	scratch_load_b64 v[5:6], v9, off
	s_or_b32 s11, s11, exec_lo
	s_waitcnt vmcnt(0)
	flat_load_b32 v5, v[5:6]
	s_waitcnt vmcnt(0) lgkmcnt(0)
	v_cmp_ne_u32_e32 vcc_lo, 0x100, v5
	v_mov_b32_e32 v5, 1
	s_and_saveexec_b32 s12, vcc_lo
	s_cbranch_execz .LBB0_154
; %bb.156:                              ;   in Loop: Header=BB0_155 Depth=2
	v_add_nc_u32_e32 v7, -1, v7
	v_add_nc_u32_e32 v9, 8, v9
	v_mov_b32_e32 v5, 0
	s_and_not1_b32 s11, s11, exec_lo
	s_delay_alu instid0(VALU_DEP_3) | instskip(SKIP_1) | instid1(SALU_CYCLE_1)
	v_cmp_eq_u32_e32 vcc_lo, 0, v7
	s_and_b32 s13, vcc_lo, exec_lo
	s_or_b32 s11, s11, s13
	s_branch .LBB0_154
.LBB0_157:
	s_endpgm
	.section	.rodata,"a",@progbits
	.p2align	6, 0x0
	.amdhsa_kernel _Z13parallelMatchPcPKjiS_S1_PhP5State
		.amdhsa_group_segment_fixed_size 12008
		.amdhsa_private_segment_fixed_size 17632
		.amdhsa_kernarg_size 312
		.amdhsa_user_sgpr_count 15
		.amdhsa_user_sgpr_dispatch_ptr 0
		.amdhsa_user_sgpr_queue_ptr 0
		.amdhsa_user_sgpr_kernarg_segment_ptr 1
		.amdhsa_user_sgpr_dispatch_id 0
		.amdhsa_user_sgpr_private_segment_size 0
		.amdhsa_wavefront_size32 1
		.amdhsa_uses_dynamic_stack 0
		.amdhsa_enable_private_segment 1
		.amdhsa_system_sgpr_workgroup_id_x 1
		.amdhsa_system_sgpr_workgroup_id_y 0
		.amdhsa_system_sgpr_workgroup_id_z 0
		.amdhsa_system_sgpr_workgroup_info 0
		.amdhsa_system_vgpr_workitem_id 0
		.amdhsa_next_free_vgpr 20
		.amdhsa_next_free_sgpr 20
		.amdhsa_reserve_vcc 1
		.amdhsa_float_round_mode_32 0
		.amdhsa_float_round_mode_16_64 0
		.amdhsa_float_denorm_mode_32 3
		.amdhsa_float_denorm_mode_16_64 3
		.amdhsa_dx10_clamp 1
		.amdhsa_ieee_mode 1
		.amdhsa_fp16_overflow 0
		.amdhsa_workgroup_processor_mode 1
		.amdhsa_memory_ordered 1
		.amdhsa_forward_progress 0
		.amdhsa_shared_vgpr_count 0
		.amdhsa_exception_fp_ieee_invalid_op 0
		.amdhsa_exception_fp_denorm_src 0
		.amdhsa_exception_fp_ieee_div_zero 0
		.amdhsa_exception_fp_ieee_overflow 0
		.amdhsa_exception_fp_ieee_underflow 0
		.amdhsa_exception_fp_ieee_inexact 0
		.amdhsa_exception_int_div_zero 0
	.end_amdhsa_kernel
	.text
.Lfunc_end0:
	.size	_Z13parallelMatchPcPKjiS_S1_PhP5State, .Lfunc_end0-_Z13parallelMatchPcPKjiS_S1_PhP5State
                                        ; -- End function
	.section	.AMDGPU.csdata,"",@progbits
; Kernel info:
; codeLenInByte = 4152
; NumSgprs: 22
; NumVgprs: 20
; ScratchSize: 17632
; MemoryBound: 0
; FloatMode: 240
; IeeeMode: 1
; LDSByteSize: 12008 bytes/workgroup (compile time only)
; SGPRBlocks: 2
; VGPRBlocks: 2
; NumSGPRsForWavesPerEU: 22
; NumVGPRsForWavesPerEU: 20
; Occupancy: 16
; WaveLimiterHint : 1
; COMPUTE_PGM_RSRC2:SCRATCH_EN: 1
; COMPUTE_PGM_RSRC2:USER_SGPR: 15
; COMPUTE_PGM_RSRC2:TRAP_HANDLER: 0
; COMPUTE_PGM_RSRC2:TGID_X_EN: 1
; COMPUTE_PGM_RSRC2:TGID_Y_EN: 0
; COMPUTE_PGM_RSRC2:TGID_Z_EN: 0
; COMPUTE_PGM_RSRC2:TIDIG_COMP_CNT: 0
	.text
	.p2alignl 7, 3214868480
	.fill 96, 4, 3214868480
	.type	__hip_cuid_df6ed7abfe048e1f,@object ; @__hip_cuid_df6ed7abfe048e1f
	.section	.bss,"aw",@nobits
	.globl	__hip_cuid_df6ed7abfe048e1f
__hip_cuid_df6ed7abfe048e1f:
	.byte	0                               ; 0x0
	.size	__hip_cuid_df6ed7abfe048e1f, 1

	.ident	"AMD clang version 19.0.0git (https://github.com/RadeonOpenCompute/llvm-project roc-6.4.0 25133 c7fe45cf4b819c5991fe208aaa96edf142730f1d)"
	.section	".note.GNU-stack","",@progbits
	.addrsig
	.addrsig_sym __hip_cuid_df6ed7abfe048e1f
	.amdgpu_metadata
---
amdhsa.kernels:
  - .args:
      - .address_space:  global
        .offset:         0
        .size:           8
        .value_kind:     global_buffer
      - .address_space:  global
        .offset:         8
        .size:           8
        .value_kind:     global_buffer
      - .offset:         16
        .size:           4
        .value_kind:     by_value
      - .address_space:  global
        .offset:         24
        .size:           8
        .value_kind:     global_buffer
      - .address_space:  global
        .offset:         32
        .size:           8
        .value_kind:     global_buffer
      - .address_space:  global
        .offset:         40
        .size:           8
        .value_kind:     global_buffer
      - .address_space:  global
        .offset:         48
        .size:           8
        .value_kind:     global_buffer
      - .offset:         56
        .size:           4
        .value_kind:     hidden_block_count_x
      - .offset:         60
        .size:           4
        .value_kind:     hidden_block_count_y
      - .offset:         64
        .size:           4
        .value_kind:     hidden_block_count_z
      - .offset:         68
        .size:           2
        .value_kind:     hidden_group_size_x
      - .offset:         70
        .size:           2
        .value_kind:     hidden_group_size_y
      - .offset:         72
        .size:           2
        .value_kind:     hidden_group_size_z
      - .offset:         74
        .size:           2
        .value_kind:     hidden_remainder_x
      - .offset:         76
        .size:           2
        .value_kind:     hidden_remainder_y
      - .offset:         78
        .size:           2
        .value_kind:     hidden_remainder_z
      - .offset:         96
        .size:           8
        .value_kind:     hidden_global_offset_x
      - .offset:         104
        .size:           8
        .value_kind:     hidden_global_offset_y
      - .offset:         112
        .size:           8
        .value_kind:     hidden_global_offset_z
      - .offset:         120
        .size:           2
        .value_kind:     hidden_grid_dims
    .group_segment_fixed_size: 12008
    .kernarg_segment_align: 8
    .kernarg_segment_size: 312
    .language:       OpenCL C
    .language_version:
      - 2
      - 0
    .max_flat_workgroup_size: 1024
    .name:           _Z13parallelMatchPcPKjiS_S1_PhP5State
    .private_segment_fixed_size: 17632
    .sgpr_count:     22
    .sgpr_spill_count: 0
    .symbol:         _Z13parallelMatchPcPKjiS_S1_PhP5State.kd
    .uniform_work_group_size: 1
    .uses_dynamic_stack: false
    .vgpr_count:     20
    .vgpr_spill_count: 0
    .wavefront_size: 32
    .workgroup_processor_mode: 1
amdhsa.target:   amdgcn-amd-amdhsa--gfx1100
amdhsa.version:
  - 1
  - 2
...

	.end_amdgpu_metadata
